;; amdgpu-corpus repo=ROCm/rocFFT kind=compiled arch=gfx906 opt=O3
	.text
	.amdgcn_target "amdgcn-amd-amdhsa--gfx906"
	.amdhsa_code_object_version 6
	.protected	fft_rtc_fwd_len910_factors_13_2_7_5_wgs_182_tpt_91_dp_ip_CI_sbrr_dirReg ; -- Begin function fft_rtc_fwd_len910_factors_13_2_7_5_wgs_182_tpt_91_dp_ip_CI_sbrr_dirReg
	.globl	fft_rtc_fwd_len910_factors_13_2_7_5_wgs_182_tpt_91_dp_ip_CI_sbrr_dirReg
	.p2align	8
	.type	fft_rtc_fwd_len910_factors_13_2_7_5_wgs_182_tpt_91_dp_ip_CI_sbrr_dirReg,@function
fft_rtc_fwd_len910_factors_13_2_7_5_wgs_182_tpt_91_dp_ip_CI_sbrr_dirReg: ; @fft_rtc_fwd_len910_factors_13_2_7_5_wgs_182_tpt_91_dp_ip_CI_sbrr_dirReg
; %bb.0:
	s_load_dwordx2 s[2:3], s[4:5], 0x18
	s_load_dwordx4 s[8:11], s[4:5], 0x0
	s_load_dwordx2 s[14:15], s[4:5], 0x50
	v_mul_u32_u24_e32 v1, 0x2d1, v0
	v_lshrrev_b32_e32 v64, 16, v1
	s_waitcnt lgkmcnt(0)
	s_load_dwordx2 s[12:13], s[2:3], 0x0
	v_cmp_lt_u64_e64 s[0:1], s[10:11], 2
	v_mov_b32_e32 v3, 0
	v_mov_b32_e32 v1, 0
	v_lshl_add_u32 v5, s6, 1, v64
	v_mov_b32_e32 v6, v3
	s_and_b64 vcc, exec, s[0:1]
	v_mov_b32_e32 v2, 0
	s_cbranch_vccnz .LBB0_8
; %bb.1:
	s_load_dwordx2 s[0:1], s[4:5], 0x10
	s_add_u32 s6, s2, 8
	s_addc_u32 s7, s3, 0
	v_mov_b32_e32 v1, 0
	v_mov_b32_e32 v2, 0
	s_waitcnt lgkmcnt(0)
	s_add_u32 s16, s0, 8
	s_addc_u32 s17, s1, 0
	s_mov_b64 s[18:19], 1
.LBB0_2:                                ; =>This Inner Loop Header: Depth=1
	s_load_dwordx2 s[20:21], s[16:17], 0x0
                                        ; implicit-def: $vgpr7_vgpr8
	s_waitcnt lgkmcnt(0)
	v_or_b32_e32 v4, s21, v6
	v_cmp_ne_u64_e32 vcc, 0, v[3:4]
	s_and_saveexec_b64 s[0:1], vcc
	s_xor_b64 s[22:23], exec, s[0:1]
	s_cbranch_execz .LBB0_4
; %bb.3:                                ;   in Loop: Header=BB0_2 Depth=1
	v_cvt_f32_u32_e32 v4, s20
	v_cvt_f32_u32_e32 v7, s21
	s_sub_u32 s0, 0, s20
	s_subb_u32 s1, 0, s21
	v_mac_f32_e32 v4, 0x4f800000, v7
	v_rcp_f32_e32 v4, v4
	v_mul_f32_e32 v4, 0x5f7ffffc, v4
	v_mul_f32_e32 v7, 0x2f800000, v4
	v_trunc_f32_e32 v7, v7
	v_mac_f32_e32 v4, 0xcf800000, v7
	v_cvt_u32_f32_e32 v7, v7
	v_cvt_u32_f32_e32 v4, v4
	v_mul_lo_u32 v8, s0, v7
	v_mul_hi_u32 v9, s0, v4
	v_mul_lo_u32 v11, s1, v4
	v_mul_lo_u32 v10, s0, v4
	v_add_u32_e32 v8, v9, v8
	v_add_u32_e32 v8, v8, v11
	v_mul_hi_u32 v9, v4, v10
	v_mul_lo_u32 v11, v4, v8
	v_mul_hi_u32 v13, v4, v8
	v_mul_hi_u32 v12, v7, v10
	v_mul_lo_u32 v10, v7, v10
	v_mul_hi_u32 v14, v7, v8
	v_add_co_u32_e32 v9, vcc, v9, v11
	v_addc_co_u32_e32 v11, vcc, 0, v13, vcc
	v_mul_lo_u32 v8, v7, v8
	v_add_co_u32_e32 v9, vcc, v9, v10
	v_addc_co_u32_e32 v9, vcc, v11, v12, vcc
	v_addc_co_u32_e32 v10, vcc, 0, v14, vcc
	v_add_co_u32_e32 v8, vcc, v9, v8
	v_addc_co_u32_e32 v9, vcc, 0, v10, vcc
	v_add_co_u32_e32 v4, vcc, v4, v8
	v_addc_co_u32_e32 v7, vcc, v7, v9, vcc
	v_mul_lo_u32 v8, s0, v7
	v_mul_hi_u32 v9, s0, v4
	v_mul_lo_u32 v10, s1, v4
	v_mul_lo_u32 v11, s0, v4
	v_add_u32_e32 v8, v9, v8
	v_add_u32_e32 v8, v8, v10
	v_mul_lo_u32 v12, v4, v8
	v_mul_hi_u32 v13, v4, v11
	v_mul_hi_u32 v14, v4, v8
	v_mul_hi_u32 v10, v7, v11
	v_mul_lo_u32 v11, v7, v11
	v_mul_hi_u32 v9, v7, v8
	v_add_co_u32_e32 v12, vcc, v13, v12
	v_addc_co_u32_e32 v13, vcc, 0, v14, vcc
	v_mul_lo_u32 v8, v7, v8
	v_add_co_u32_e32 v11, vcc, v12, v11
	v_addc_co_u32_e32 v10, vcc, v13, v10, vcc
	v_addc_co_u32_e32 v9, vcc, 0, v9, vcc
	v_add_co_u32_e32 v8, vcc, v10, v8
	v_addc_co_u32_e32 v9, vcc, 0, v9, vcc
	v_add_co_u32_e32 v4, vcc, v4, v8
	v_addc_co_u32_e32 v9, vcc, v7, v9, vcc
	v_mad_u64_u32 v[7:8], s[0:1], v5, v9, 0
	v_mul_hi_u32 v10, v5, v4
	v_add_co_u32_e32 v11, vcc, v10, v7
	v_addc_co_u32_e32 v12, vcc, 0, v8, vcc
	v_mad_u64_u32 v[7:8], s[0:1], v6, v4, 0
	v_mad_u64_u32 v[9:10], s[0:1], v6, v9, 0
	v_add_co_u32_e32 v4, vcc, v11, v7
	v_addc_co_u32_e32 v4, vcc, v12, v8, vcc
	v_addc_co_u32_e32 v7, vcc, 0, v10, vcc
	v_add_co_u32_e32 v4, vcc, v4, v9
	v_addc_co_u32_e32 v9, vcc, 0, v7, vcc
	v_mul_lo_u32 v10, s21, v4
	v_mul_lo_u32 v11, s20, v9
	v_mad_u64_u32 v[7:8], s[0:1], s20, v4, 0
	v_add3_u32 v8, v8, v11, v10
	v_sub_u32_e32 v10, v6, v8
	v_mov_b32_e32 v11, s21
	v_sub_co_u32_e32 v7, vcc, v5, v7
	v_subb_co_u32_e64 v10, s[0:1], v10, v11, vcc
	v_subrev_co_u32_e64 v11, s[0:1], s20, v7
	v_subbrev_co_u32_e64 v10, s[0:1], 0, v10, s[0:1]
	v_cmp_le_u32_e64 s[0:1], s21, v10
	v_cndmask_b32_e64 v12, 0, -1, s[0:1]
	v_cmp_le_u32_e64 s[0:1], s20, v11
	v_cndmask_b32_e64 v11, 0, -1, s[0:1]
	v_cmp_eq_u32_e64 s[0:1], s21, v10
	v_cndmask_b32_e64 v10, v12, v11, s[0:1]
	v_add_co_u32_e64 v11, s[0:1], 2, v4
	v_addc_co_u32_e64 v12, s[0:1], 0, v9, s[0:1]
	v_add_co_u32_e64 v13, s[0:1], 1, v4
	v_addc_co_u32_e64 v14, s[0:1], 0, v9, s[0:1]
	v_subb_co_u32_e32 v8, vcc, v6, v8, vcc
	v_cmp_ne_u32_e64 s[0:1], 0, v10
	v_cmp_le_u32_e32 vcc, s21, v8
	v_cndmask_b32_e64 v10, v14, v12, s[0:1]
	v_cndmask_b32_e64 v12, 0, -1, vcc
	v_cmp_le_u32_e32 vcc, s20, v7
	v_cndmask_b32_e64 v7, 0, -1, vcc
	v_cmp_eq_u32_e32 vcc, s21, v8
	v_cndmask_b32_e32 v7, v12, v7, vcc
	v_cmp_ne_u32_e32 vcc, 0, v7
	v_cndmask_b32_e64 v7, v13, v11, s[0:1]
	v_cndmask_b32_e32 v8, v9, v10, vcc
	v_cndmask_b32_e32 v7, v4, v7, vcc
.LBB0_4:                                ;   in Loop: Header=BB0_2 Depth=1
	s_andn2_saveexec_b64 s[0:1], s[22:23]
	s_cbranch_execz .LBB0_6
; %bb.5:                                ;   in Loop: Header=BB0_2 Depth=1
	v_cvt_f32_u32_e32 v4, s20
	s_sub_i32 s22, 0, s20
	v_rcp_iflag_f32_e32 v4, v4
	v_mul_f32_e32 v4, 0x4f7ffffe, v4
	v_cvt_u32_f32_e32 v4, v4
	v_mul_lo_u32 v7, s22, v4
	v_mul_hi_u32 v7, v4, v7
	v_add_u32_e32 v4, v4, v7
	v_mul_hi_u32 v4, v5, v4
	v_mul_lo_u32 v7, v4, s20
	v_add_u32_e32 v8, 1, v4
	v_sub_u32_e32 v7, v5, v7
	v_subrev_u32_e32 v9, s20, v7
	v_cmp_le_u32_e32 vcc, s20, v7
	v_cndmask_b32_e32 v7, v7, v9, vcc
	v_cndmask_b32_e32 v4, v4, v8, vcc
	v_add_u32_e32 v8, 1, v4
	v_cmp_le_u32_e32 vcc, s20, v7
	v_cndmask_b32_e32 v7, v4, v8, vcc
	v_mov_b32_e32 v8, v3
.LBB0_6:                                ;   in Loop: Header=BB0_2 Depth=1
	s_or_b64 exec, exec, s[0:1]
	v_mul_lo_u32 v4, v8, s20
	v_mul_lo_u32 v11, v7, s21
	v_mad_u64_u32 v[9:10], s[0:1], v7, s20, 0
	s_load_dwordx2 s[0:1], s[6:7], 0x0
	s_add_u32 s18, s18, 1
	v_add3_u32 v4, v10, v11, v4
	v_sub_co_u32_e32 v5, vcc, v5, v9
	v_subb_co_u32_e32 v4, vcc, v6, v4, vcc
	s_waitcnt lgkmcnt(0)
	v_mul_lo_u32 v4, s0, v4
	v_mul_lo_u32 v6, s1, v5
	v_mad_u64_u32 v[1:2], s[0:1], s0, v5, v[1:2]
	s_addc_u32 s19, s19, 0
	s_add_u32 s6, s6, 8
	v_add3_u32 v2, v6, v2, v4
	v_mov_b32_e32 v4, s10
	v_mov_b32_e32 v5, s11
	s_addc_u32 s7, s7, 0
	v_cmp_ge_u64_e32 vcc, s[18:19], v[4:5]
	s_add_u32 s16, s16, 8
	s_addc_u32 s17, s17, 0
	s_cbranch_vccnz .LBB0_9
; %bb.7:                                ;   in Loop: Header=BB0_2 Depth=1
	v_mov_b32_e32 v5, v7
	v_mov_b32_e32 v6, v8
	s_branch .LBB0_2
.LBB0_8:
	v_mov_b32_e32 v8, v6
	v_mov_b32_e32 v7, v5
.LBB0_9:
	s_lshl_b64 s[0:1], s[10:11], 3
	s_add_u32 s0, s2, s0
	s_addc_u32 s1, s3, s1
	s_load_dwordx2 s[2:3], s[0:1], 0x0
	s_load_dwordx2 s[6:7], s[4:5], 0x20
                                        ; implicit-def: $vgpr14_vgpr15
                                        ; implicit-def: $vgpr18_vgpr19
                                        ; implicit-def: $vgpr22_vgpr23
                                        ; implicit-def: $vgpr26_vgpr27
                                        ; implicit-def: $vgpr30_vgpr31
                                        ; implicit-def: $vgpr34_vgpr35
                                        ; implicit-def: $vgpr42_vgpr43
                                        ; implicit-def: $vgpr46_vgpr47
                                        ; implicit-def: $vgpr50_vgpr51
                                        ; implicit-def: $vgpr54_vgpr55
                                        ; implicit-def: $vgpr58_vgpr59
                                        ; implicit-def: $vgpr62_vgpr63
                                        ; implicit-def: $vgpr38_vgpr39
	s_waitcnt lgkmcnt(0)
	v_mad_u64_u32 v[1:2], s[0:1], s2, v7, v[1:2]
	s_mov_b32 s0, 0x2d02d03
	v_mul_lo_u32 v3, s2, v8
	v_mul_lo_u32 v4, s3, v7
	v_mul_hi_u32 v5, v0, s0
	v_cmp_gt_u64_e32 vcc, s[6:7], v[7:8]
	s_movk_i32 s0, 0x46
	v_add3_u32 v2, v4, v2, v3
	v_mul_u32_u24_e32 v3, 0x5b, v5
	v_sub_u32_e32 v200, v0, v3
	v_cmp_gt_u32_e64 s[0:1], s0, v200
	v_lshlrev_b64 v[68:69], 4, v[1:2]
	s_and_b64 s[2:3], vcc, s[0:1]
	s_and_saveexec_b64 s[4:5], s[2:3]
	s_cbranch_execz .LBB0_11
; %bb.10:
	v_mad_u64_u32 v[0:1], s[2:3], s12, v200, 0
	v_add_u32_e32 v5, 0x46, v200
	v_mov_b32_e32 v4, s15
	v_mad_u64_u32 v[1:2], s[2:3], s13, v200, v[1:2]
	v_mad_u64_u32 v[2:3], s[2:3], s12, v5, 0
	v_add_co_u32_e64 v20, s[2:3], s14, v68
	v_addc_co_u32_e64 v21, s[2:3], v4, v69, s[2:3]
	v_mad_u64_u32 v[3:4], s[2:3], s13, v5, v[3:4]
	v_add_u32_e32 v6, 0x8c, v200
	v_mad_u64_u32 v[4:5], s[2:3], s12, v6, 0
	v_lshlrev_b64 v[0:1], 4, v[0:1]
	v_add_u32_e32 v8, 0xd2, v200
	v_add_co_u32_e64 v0, s[2:3], v20, v0
	v_addc_co_u32_e64 v1, s[2:3], v21, v1, s[2:3]
	v_mad_u64_u32 v[5:6], s[2:3], s13, v6, v[5:6]
	v_mad_u64_u32 v[6:7], s[2:3], s12, v8, 0
	v_lshlrev_b64 v[2:3], 4, v[2:3]
	v_add_u32_e32 v10, 0x118, v200
	v_add_co_u32_e64 v2, s[2:3], v20, v2
	v_addc_co_u32_e64 v3, s[2:3], v21, v3, s[2:3]
	v_mad_u64_u32 v[7:8], s[2:3], s13, v8, v[7:8]
	;; [unrolled: 6-line block ×6, first 2 shown]
	v_mad_u64_u32 v[16:17], s[2:3], s12, v18, 0
	v_lshlrev_b64 v[12:13], 4, v[12:13]
	v_add_co_u32_e64 v65, s[2:3], v20, v12
	v_addc_co_u32_e64 v66, s[2:3], v21, v13, s[2:3]
	v_lshlrev_b64 v[12:13], 4, v[14:15]
	v_mov_b32_e32 v14, v17
	v_mad_u64_u32 v[14:15], s[2:3], s13, v18, v[14:15]
	v_add_u32_e32 v15, 0x276, v200
	v_mad_u64_u32 v[18:19], s[2:3], s12, v15, 0
	v_add_co_u32_e64 v70, s[2:3], v20, v12
	v_mov_b32_e32 v17, v14
	v_mov_b32_e32 v14, v19
	v_addc_co_u32_e64 v71, s[2:3], v21, v13, s[2:3]
	v_lshlrev_b64 v[12:13], 4, v[16:17]
	v_mad_u64_u32 v[14:15], s[2:3], s13, v15, v[14:15]
	v_add_u32_e32 v17, 0x2bc, v200
	v_mad_u64_u32 v[15:16], s[2:3], s12, v17, 0
	v_add_co_u32_e64 v72, s[2:3], v20, v12
	v_mov_b32_e32 v19, v14
	v_mov_b32_e32 v14, v16
	v_addc_co_u32_e64 v73, s[2:3], v21, v13, s[2:3]
	v_lshlrev_b64 v[12:13], 4, v[18:19]
	v_mad_u64_u32 v[16:17], s[2:3], s13, v17, v[14:15]
	v_add_u32_e32 v19, 0x302, v200
	v_mad_u64_u32 v[17:18], s[2:3], s12, v19, 0
	v_add_co_u32_e64 v74, s[2:3], v20, v12
	v_mov_b32_e32 v14, v18
	v_addc_co_u32_e64 v75, s[2:3], v21, v13, s[2:3]
	v_lshlrev_b64 v[12:13], 4, v[15:16]
	v_mad_u64_u32 v[14:15], s[2:3], s13, v19, v[14:15]
	v_add_u32_e32 v19, 0x348, v200
	v_mad_u64_u32 v[15:16], s[2:3], s12, v19, 0
	v_add_co_u32_e64 v76, s[2:3], v20, v12
	v_mov_b32_e32 v18, v14
	v_mov_b32_e32 v14, v16
	v_addc_co_u32_e64 v77, s[2:3], v21, v13, s[2:3]
	v_lshlrev_b64 v[12:13], 4, v[17:18]
	v_mad_u64_u32 v[16:17], s[2:3], s13, v19, v[14:15]
	v_add_co_u32_e64 v78, s[2:3], v20, v12
	v_addc_co_u32_e64 v79, s[2:3], v21, v13, s[2:3]
	v_lshlrev_b64 v[12:13], 4, v[15:16]
	v_add_co_u32_e64 v80, s[2:3], v20, v12
	v_addc_co_u32_e64 v81, s[2:3], v21, v13, s[2:3]
	global_load_dwordx4 v[36:39], v[0:1], off
	global_load_dwordx4 v[60:63], v[2:3], off
	;; [unrolled: 1-line block ×13, first 2 shown]
.LBB0_11:
	s_or_b64 exec, exec, s[4:5]
	s_waitcnt vmcnt(0)
	v_add_f64 v[84:85], v[12:13], v[60:61]
	s_mov_b32 s4, 0xe00740e9
	s_mov_b32 s5, 0x3fec55a7
	v_add_f64 v[94:95], v[62:63], -v[14:15]
	v_add_f64 v[92:93], v[16:17], v[56:57]
	v_add_f64 v[124:125], v[60:61], -v[12:13]
	s_mov_b32 s40, 0x4267c47c
	s_mov_b32 s6, 0x1ea71119
	v_mul_f64 v[70:71], v[84:85], s[4:5]
	s_mov_b32 s41, 0xbfddbe06
	s_mov_b32 s7, 0x3fe22d96
	v_add_f64 v[112:113], v[58:59], -v[18:19]
	v_add_f64 v[102:103], v[14:15], v[62:63]
	v_add_f64 v[126:127], v[56:57], -v[16:17]
	v_mul_f64 v[72:73], v[92:93], s[6:7]
	v_mul_f64 v[74:75], v[124:125], s[40:41]
	v_fma_f64 v[0:1], v[94:95], s[40:41], v[70:71]
	v_add_f64 v[106:107], v[20:21], v[52:53]
	s_mov_b32 s10, 0x42a4c3d2
	s_mov_b32 s16, 0xebaa3ed8
	;; [unrolled: 1-line block ×4, first 2 shown]
	v_add_f64 v[104:105], v[18:19], v[58:59]
	v_mul_f64 v[78:79], v[126:127], s[10:11]
	v_fma_f64 v[2:3], v[112:113], s[10:11], v[72:73]
	v_fma_f64 v[4:5], v[102:103], s[4:5], -v[74:75]
	v_add_f64 v[0:1], v[36:37], v[0:1]
	v_add_f64 v[130:131], v[54:55], -v[22:23]
	v_mul_f64 v[76:77], v[106:107], s[16:17]
	v_add_f64 v[158:159], v[52:53], -v[20:21]
	s_mov_b32 s20, 0x66966769
	s_mov_b32 s21, 0xbfefc445
	v_fma_f64 v[6:7], v[104:105], s[6:7], -v[78:79]
	v_add_f64 v[4:5], v[38:39], v[4:5]
	v_add_f64 v[0:1], v[2:3], v[0:1]
	;; [unrolled: 1-line block ×3, first 2 shown]
	v_fma_f64 v[2:3], v[130:131], s[20:21], v[76:77]
	v_add_f64 v[128:129], v[22:23], v[54:55]
	v_mul_f64 v[82:83], v[158:159], s[20:21]
	v_add_f64 v[176:177], v[48:49], -v[24:25]
	s_mov_b32 s18, 0xb2365da1
	s_mov_b32 s28, 0x2ef20147
	s_mov_b32 s19, 0xbfd6b1d8
	s_mov_b32 s29, 0xbfedeba7
	v_add_f64 v[136:137], v[50:51], -v[26:27]
	v_mul_f64 v[80:81], v[114:115], s[18:19]
	v_add_f64 v[4:5], v[6:7], v[4:5]
	v_add_f64 v[0:1], v[2:3], v[0:1]
	v_fma_f64 v[2:3], v[128:129], s[16:17], -v[82:83]
	v_add_f64 v[122:123], v[28:29], v[44:45]
	v_add_f64 v[148:149], v[26:27], v[50:51]
	v_mul_f64 v[88:89], v[176:177], s[28:29]
	v_add_f64 v[190:191], v[44:45], -v[28:29]
	s_mov_b32 s22, 0xd0032e0c
	s_mov_b32 s30, 0x24c2f84
	;; [unrolled: 1-line block ×6, first 2 shown]
	v_fma_f64 v[6:7], v[136:137], s[28:29], v[80:81]
	v_add_f64 v[144:145], v[46:47], -v[30:31]
	v_mul_f64 v[86:87], v[122:123], s[22:23]
	v_add_f64 v[2:3], v[2:3], v[4:5]
	v_fma_f64 v[4:5], v[148:149], s[18:19], -v[88:89]
	v_add_f64 v[162:163], v[30:31], v[46:47]
	v_mul_f64 v[90:91], v[190:191], s[24:25]
	v_mul_f64 v[100:101], v[84:85], s[6:7]
	v_add_f64 v[0:1], v[6:7], v[0:1]
	v_mul_f64 v[150:151], v[124:125], s[10:11]
	v_fma_f64 v[6:7], v[144:145], s[24:25], v[86:87]
	v_mul_f64 v[108:109], v[92:93], s[18:19]
	v_add_f64 v[2:3], v[4:5], v[2:3]
	v_mul_f64 v[118:119], v[126:127], s[28:29]
	v_fma_f64 v[4:5], v[162:163], s[22:23], -v[90:91]
	s_mov_b32 s26, 0x93053d00
	s_mov_b32 s27, 0xbfef11f4
	;; [unrolled: 1-line block ×3, first 2 shown]
	v_add_f64 v[0:1], v[6:7], v[0:1]
	v_fma_f64 v[6:7], v[102:103], s[6:7], -v[150:151]
	s_mov_b32 s34, 0x4bc48dbf
	v_fma_f64 v[8:9], v[112:113], s[28:29], v[108:109]
	v_add_f64 v[2:3], v[4:5], v[2:3]
	v_fma_f64 v[4:5], v[94:95], s[10:11], v[100:101]
	v_fma_f64 v[10:11], v[104:105], s[18:19], -v[118:119]
	v_mul_f64 v[110:111], v[106:107], s[26:27]
	v_mul_f64 v[120:121], v[158:159], s[34:35]
	v_add_f64 v[6:7], v[38:39], v[6:7]
	v_mul_f64 v[140:141], v[84:85], s[16:17]
	v_mul_f64 v[194:195], v[124:125], s[20:21]
	;; [unrolled: 1-line block ×3, first 2 shown]
	v_add_f64 v[4:5], v[36:37], v[4:5]
	v_mul_f64 v[138:139], v[176:177], s[30:31]
	v_mul_f64 v[142:143], v[92:93], s[26:27]
	;; [unrolled: 1-line block ×3, first 2 shown]
	v_add_f64 v[6:7], v[10:11], v[6:7]
	v_fma_f64 v[10:11], v[128:129], s[26:27], -v[120:121]
	v_fma_f64 v[132:133], v[94:95], s[20:21], v[140:141]
	v_fma_f64 v[134:135], v[102:103], s[16:17], -v[194:195]
	v_add_f64 v[4:5], v[8:9], v[4:5]
	v_fma_f64 v[8:9], v[130:131], s[34:35], v[110:111]
	s_mov_b32 s43, 0x3fedeba7
	s_mov_b32 s42, s28
	v_fma_f64 v[152:153], v[112:113], s[34:35], v[142:143]
	v_add_f64 v[6:7], v[10:11], v[6:7]
	v_fma_f64 v[10:11], v[148:149], s[22:23], -v[138:139]
	v_add_f64 v[132:133], v[36:37], v[132:133]
	v_add_f64 v[134:135], v[38:39], v[134:135]
	v_add_f64 v[4:5], v[8:9], v[4:5]
	v_fma_f64 v[8:9], v[136:137], s[30:31], v[116:117]
	v_fma_f64 v[154:155], v[104:105], s[26:27], -v[198:199]
	v_mul_f64 v[146:147], v[106:107], s[18:19]
	v_mul_f64 v[164:165], v[158:159], s[42:43]
	s_mov_b32 s37, 0x3fddbe06
	s_mov_b32 s36, s40
	v_add_f64 v[6:7], v[10:11], v[6:7]
	v_mul_f64 v[168:169], v[176:177], s[36:37]
	v_add_f64 v[4:5], v[8:9], v[4:5]
	v_add_f64 v[8:9], v[152:153], v[132:133]
	;; [unrolled: 1-line block ×3, first 2 shown]
	v_fma_f64 v[134:135], v[130:131], s[42:43], v[146:147]
	v_fma_f64 v[156:157], v[128:129], s[18:19], -v[164:165]
	v_mul_f64 v[152:153], v[114:115], s[4:5]
	s_mov_b32 s39, 0x3fefc445
	s_mov_b32 s38, s20
	v_add_f64 v[172:173], v[32:33], v[40:41]
	v_add_f64 v[188:189], v[40:41], -v[32:33]
	v_mul_f64 v[132:133], v[122:123], s[16:17]
	v_mul_f64 v[154:155], v[190:191], s[38:39]
	v_add_f64 v[8:9], v[134:135], v[8:9]
	v_add_f64 v[10:11], v[156:157], v[10:11]
	v_fma_f64 v[166:167], v[136:137], s[36:37], v[152:153]
	v_fma_f64 v[174:175], v[148:149], s[4:5], -v[168:169]
	v_mul_f64 v[156:157], v[122:123], s[6:7]
	v_mul_f64 v[170:171], v[190:191], s[10:11]
	v_add_f64 v[186:187], v[42:43], -v[34:35]
	v_mul_f64 v[96:97], v[172:173], s[26:27]
	v_add_f64 v[184:185], v[34:35], v[42:43]
	v_mul_f64 v[98:99], v[188:189], s[34:35]
	v_fma_f64 v[180:181], v[144:145], s[38:39], v[132:133]
	v_fma_f64 v[182:183], v[162:163], s[16:17], -v[154:155]
	v_mul_f64 v[134:135], v[172:173], s[4:5]
	v_mul_f64 v[160:161], v[188:189], s[36:37]
	v_add_f64 v[8:9], v[166:167], v[8:9]
	v_add_f64 v[10:11], v[174:175], v[10:11]
	v_fma_f64 v[192:193], v[144:145], s[10:11], v[156:157]
	v_fma_f64 v[196:197], v[162:163], s[6:7], -v[170:171]
	v_mul_f64 v[166:167], v[172:173], s[22:23]
	v_mul_f64 v[174:175], v[188:189], s[24:25]
	v_fma_f64 v[65:66], v[186:187], s[34:35], v[96:97]
	v_fma_f64 v[178:179], v[184:185], s[26:27], -v[98:99]
	v_add_f64 v[4:5], v[180:181], v[4:5]
	v_add_f64 v[6:7], v[182:183], v[6:7]
	v_fma_f64 v[180:181], v[186:187], s[36:37], v[134:135]
	v_fma_f64 v[182:183], v[184:185], s[4:5], -v[160:161]
	v_add_f64 v[192:193], v[192:193], v[8:9]
	v_add_f64 v[196:197], v[196:197], v[10:11]
	;; [unrolled: 4-line block ×3, first 2 shown]
	v_add_f64 v[4:5], v[180:181], v[4:5]
	v_add_f64 v[6:7], v[182:183], v[6:7]
	v_and_b32_e32 v64, 1, v64
	v_mov_b32_e32 v65, 0x38e
	v_add_f64 v[0:1], v[201:202], v[192:193]
	v_add_f64 v[2:3], v[203:204], v[196:197]
	v_cmp_eq_u32_e64 s[2:3], 1, v64
	v_cndmask_b32_e64 v64, 0, v65, s[2:3]
	v_lshlrev_b32_e32 v201, 4, v64
	s_and_saveexec_b64 s[2:3], s[0:1]
	s_cbranch_execz .LBB0_13
; %bb.12:
	v_mul_f64 v[64:65], v[124:125], s[34:35]
	v_mul_f64 v[66:67], v[94:95], s[34:35]
	v_mul_f64 v[202:203], v[126:127], s[36:37]
	v_mul_f64 v[208:209], v[112:113], s[36:37]
	v_mul_f64 v[206:207], v[158:159], s[24:25]
	v_mul_f64 v[228:229], v[130:131], s[24:25]
	s_mov_b32 s1, 0x3fea55e2
	s_mov_b32 s0, s10
	v_fma_f64 v[204:205], v[102:103], s[26:27], -v[64:65]
	v_fma_f64 v[222:223], v[84:85], s[26:27], v[66:67]
	v_fma_f64 v[224:225], v[104:105], s[4:5], -v[202:203]
	v_fma_f64 v[230:231], v[92:93], s[4:5], v[208:209]
	v_mul_f64 v[226:227], v[176:177], s[0:1]
	v_fma_f64 v[232:233], v[128:129], s[22:23], -v[206:207]
	v_fma_f64 v[64:65], v[102:103], s[26:27], v[64:65]
	v_mul_f64 v[236:237], v[136:137], s[0:1]
	v_add_f64 v[204:205], v[38:39], v[204:205]
	v_add_f64 v[222:223], v[36:37], v[222:223]
	v_fma_f64 v[238:239], v[106:107], s[22:23], v[228:229]
	v_fma_f64 v[202:203], v[104:105], s[4:5], v[202:203]
	v_mul_f64 v[240:241], v[144:145], s[28:29]
	v_mul_f64 v[234:235], v[190:191], s[28:29]
	v_add_f64 v[64:65], v[38:39], v[64:65]
	v_fma_f64 v[242:243], v[114:115], s[6:7], v[236:237]
	v_add_f64 v[204:205], v[224:225], v[204:205]
	v_add_f64 v[222:223], v[230:231], v[222:223]
	v_fma_f64 v[230:231], v[148:149], s[6:7], -v[226:227]
	v_fma_f64 v[66:67], v[84:85], s[26:27], -v[66:67]
	v_fma_f64 v[206:207], v[128:129], s[22:23], v[206:207]
	v_fma_f64 v[208:209], v[92:93], s[4:5], -v[208:209]
	v_add_f64 v[64:65], v[202:203], v[64:65]
	v_mul_f64 v[202:203], v[186:187], s[38:39]
	v_add_f64 v[204:205], v[232:233], v[204:205]
	v_add_f64 v[222:223], v[238:239], v[222:223]
	v_mul_f64 v[232:233], v[188:189], s[38:39]
	v_fma_f64 v[238:239], v[162:163], s[18:19], -v[234:235]
	v_add_f64 v[66:67], v[36:37], v[66:67]
	v_fma_f64 v[226:227], v[148:149], s[6:7], v[226:227]
	v_add_f64 v[64:65], v[206:207], v[64:65]
	v_fma_f64 v[206:207], v[172:173], s[16:17], v[202:203]
	;; [unrolled: 2-line block ×3, first 2 shown]
	v_add_f64 v[222:223], v[242:243], v[222:223]
	v_fma_f64 v[242:243], v[184:185], s[16:17], -v[232:233]
	v_fma_f64 v[228:229], v[106:107], s[22:23], -v[228:229]
	v_add_f64 v[208:209], v[208:209], v[66:67]
	v_fma_f64 v[234:235], v[162:163], s[18:19], v[234:235]
	v_add_f64 v[226:227], v[226:227], v[64:65]
	v_add_f64 v[204:205], v[238:239], v[204:205]
	v_mul_f64 v[238:239], v[124:125], s[24:25]
	v_add_f64 v[222:223], v[230:231], v[222:223]
	v_mul_f64 v[244:245], v[130:131], s[10:11]
	v_mul_f64 v[220:221], v[112:113], s[34:35]
	v_add_f64 v[208:209], v[228:229], v[208:209]
	v_mul_f64 v[228:229], v[126:127], s[38:39]
	v_add_f64 v[226:227], v[234:235], v[226:227]
	v_add_f64 v[66:67], v[242:243], v[204:205]
	v_fma_f64 v[204:205], v[114:115], s[6:7], -v[236:237]
	v_add_f64 v[64:65], v[206:207], v[222:223]
	v_mul_f64 v[206:207], v[94:95], s[24:25]
	v_fma_f64 v[222:223], v[184:185], s[16:17], v[232:233]
	v_fma_f64 v[232:233], v[102:103], s[22:23], -v[238:239]
	v_fma_f64 v[234:235], v[122:123], s[18:19], -v[240:241]
	v_mul_f64 v[236:237], v[112:113], s[38:39]
	v_fma_f64 v[242:243], v[104:105], s[16:17], -v[228:229]
	v_mul_f64 v[224:225], v[130:131], s[34:35]
	v_mul_f64 v[230:231], v[186:187], s[34:35]
	v_fma_f64 v[240:241], v[84:85], s[22:23], v[206:207]
	s_mov_b32 s35, 0x3fcea1e5
	v_add_f64 v[232:233], v[38:39], v[232:233]
	v_add_f64 v[204:205], v[204:205], v[208:209]
	v_fma_f64 v[246:247], v[92:93], s[16:17], v[236:237]
	v_fma_f64 v[252:253], v[106:107], s[6:7], v[244:245]
	v_mul_f64 v[208:209], v[158:159], s[10:11]
	v_fma_f64 v[228:229], v[104:105], s[16:17], v[228:229]
	v_add_f64 v[240:241], v[36:37], v[240:241]
	v_fma_f64 v[206:207], v[84:85], s[22:23], -v[206:207]
	v_add_f64 v[232:233], v[242:243], v[232:233]
	v_mul_f64 v[242:243], v[136:137], s[34:35]
	v_add_f64 v[234:235], v[234:235], v[204:205]
	v_add_f64 v[204:205], v[222:223], v[226:227]
	v_fma_f64 v[222:223], v[102:103], s[22:23], v[238:239]
	v_fma_f64 v[202:203], v[172:173], s[16:17], -v[202:203]
	v_add_f64 v[240:241], v[246:247], v[240:241]
	v_mul_f64 v[246:247], v[144:145], s[36:37]
	v_mul_f64 v[248:249], v[176:177], s[34:35]
	v_fma_f64 v[238:239], v[114:115], s[26:27], v[242:243]
	v_fma_f64 v[250:251], v[128:129], s[6:7], -v[208:209]
	v_fma_f64 v[208:209], v[128:129], s[6:7], v[208:209]
	v_add_f64 v[222:223], v[38:39], v[222:223]
	v_fma_f64 v[236:237], v[92:93], s[16:17], -v[236:237]
	v_add_f64 v[240:241], v[252:253], v[240:241]
	v_add_f64 v[206:207], v[36:37], v[206:207]
	;; [unrolled: 1-line block ×3, first 2 shown]
	v_mul_f64 v[226:227], v[190:191], s[36:37]
	v_fma_f64 v[234:235], v[148:149], s[26:27], -v[248:249]
	v_add_f64 v[232:233], v[250:251], v[232:233]
	v_add_f64 v[222:223], v[228:229], v[222:223]
	v_fma_f64 v[248:249], v[148:149], s[26:27], v[248:249]
	v_add_f64 v[238:239], v[238:239], v[240:241]
	v_fma_f64 v[240:241], v[122:123], s[4:5], v[246:247]
	v_fma_f64 v[244:245], v[106:107], s[6:7], -v[244:245]
	v_add_f64 v[206:207], v[236:237], v[206:207]
	v_mul_f64 v[236:237], v[126:127], s[30:31]
	v_mul_f64 v[178:179], v[94:95], s[40:41]
	v_add_f64 v[208:209], v[208:209], v[222:223]
	v_mul_f64 v[180:181], v[94:95], s[10:11]
	v_mul_f64 v[212:213], v[94:95], s[20:21]
	v_add_f64 v[238:239], v[240:241], v[238:239]
	v_mul_f64 v[240:241], v[124:125], s[28:29]
	v_fma_f64 v[252:253], v[162:163], s[4:5], -v[226:227]
	v_add_f64 v[232:233], v[234:235], v[232:233]
	v_mul_f64 v[234:235], v[188:189], s[28:29]
	v_mul_f64 v[228:229], v[186:187], s[28:29]
	v_add_f64 v[208:209], v[248:249], v[208:209]
	v_add_f64 v[206:207], v[244:245], v[206:207]
	v_fma_f64 v[244:245], v[104:105], s[22:23], -v[236:237]
	v_fma_f64 v[254:255], v[102:103], s[18:19], -v[240:241]
	v_mul_f64 v[158:159], v[158:159], s[36:37]
	v_fma_f64 v[226:227], v[162:163], s[4:5], v[226:227]
	v_mul_f64 v[94:95], v[94:95], s[28:29]
	v_mul_f64 v[182:183], v[102:103], s[4:5]
	;; [unrolled: 1-line block ×5, first 2 shown]
	v_add_f64 v[248:249], v[38:39], v[254:255]
	v_mul_f64 v[216:217], v[112:113], s[28:29]
	v_add_f64 v[232:233], v[252:253], v[232:233]
	v_fma_f64 v[252:253], v[184:185], s[18:19], -v[234:235]
	v_fma_f64 v[124:125], v[172:173], s[18:19], v[228:229]
	v_fma_f64 v[242:243], v[114:115], s[26:27], -v[242:243]
	v_mul_f64 v[176:177], v[176:177], s[20:21]
	v_add_f64 v[208:209], v[226:227], v[208:209]
	v_add_f64 v[244:245], v[244:245], v[248:249]
	v_fma_f64 v[248:249], v[128:129], s[4:5], -v[158:159]
	v_fma_f64 v[226:227], v[172:173], s[18:19], -v[228:229]
	v_mul_f64 v[112:113], v[112:113], s[30:31]
	v_fma_f64 v[228:229], v[84:85], s[18:19], v[94:95]
	v_fma_f64 v[102:103], v[102:103], s[18:19], v[240:241]
	v_mul_f64 v[196:197], v[104:105], s[6:7]
	v_mul_f64 v[218:219], v[104:105], s[18:19]
	;; [unrolled: 1-line block ×4, first 2 shown]
	v_add_f64 v[126:127], v[252:253], v[232:233]
	v_mul_f64 v[252:253], v[130:131], s[42:43]
	v_fma_f64 v[234:235], v[184:185], s[18:19], v[234:235]
	v_fma_f64 v[246:247], v[122:123], s[4:5], -v[246:247]
	v_add_f64 v[206:207], v[242:243], v[206:207]
	v_fma_f64 v[242:243], v[148:149], s[16:17], -v[176:177]
	v_add_f64 v[244:245], v[248:249], v[244:245]
	v_mul_f64 v[130:131], v[130:131], s[36:37]
	v_fma_f64 v[248:249], v[92:93], s[22:23], v[112:113]
	v_add_f64 v[228:229], v[36:37], v[228:229]
	v_fma_f64 v[104:105], v[104:105], s[22:23], v[236:237]
	v_add_f64 v[102:103], v[38:39], v[102:103]
	v_add_f64 v[124:125], v[124:125], v[238:239]
	v_mul_f64 v[232:233], v[128:129], s[16:17]
	v_mul_f64 v[238:239], v[128:129], s[26:27]
	v_add_f64 v[206:207], v[246:247], v[206:207]
	v_mul_f64 v[246:247], v[128:129], s[18:19]
	v_add_f64 v[208:209], v[234:235], v[208:209]
	v_add_f64 v[234:235], v[242:243], v[244:245]
	v_fma_f64 v[244:245], v[106:107], s[4:5], v[130:131]
	v_add_f64 v[228:229], v[248:249], v[228:229]
	v_mul_f64 v[240:241], v[136:137], s[20:21]
	v_fma_f64 v[128:129], v[128:129], s[4:5], v[158:159]
	v_fma_f64 v[84:85], v[84:85], s[18:19], -v[94:95]
	v_add_f64 v[102:103], v[104:105], v[102:103]
	v_mul_f64 v[190:191], v[190:191], s[34:35]
	v_mul_f64 v[248:249], v[148:149], s[18:19]
	;; [unrolled: 1-line block ×3, first 2 shown]
	v_add_f64 v[228:229], v[244:245], v[228:229]
	v_fma_f64 v[244:245], v[114:115], s[16:17], v[240:241]
	v_mul_f64 v[158:159], v[148:149], s[4:5]
	v_fma_f64 v[92:93], v[92:93], s[22:23], -v[112:113]
	v_add_f64 v[84:85], v[36:37], v[84:85]
	v_fma_f64 v[148:149], v[148:149], s[16:17], v[176:177]
	v_add_f64 v[102:103], v[128:129], v[102:103]
	v_mul_f64 v[94:95], v[144:145], s[24:25]
	v_mul_f64 v[176:177], v[144:145], s[10:11]
	v_add_f64 v[228:229], v[244:245], v[228:229]
	v_mul_f64 v[244:245], v[144:145], s[38:39]
	v_mul_f64 v[188:189], v[188:189], s[0:1]
	v_fma_f64 v[106:107], v[106:107], s[4:5], -v[130:131]
	v_add_f64 v[84:85], v[92:93], v[84:85]
	v_mul_f64 v[92:93], v[144:145], s[34:35]
	v_fma_f64 v[144:145], v[162:163], s[26:27], v[190:191]
	v_add_f64 v[102:103], v[148:149], v[102:103]
	v_add_f64 v[62:63], v[62:63], v[38:39]
	v_add_f64 v[60:61], v[60:61], v[36:37]
	v_fma_f64 v[242:243], v[162:163], s[26:27], -v[190:191]
	v_mul_f64 v[104:105], v[162:163], s[22:23]
	v_mul_f64 v[112:113], v[162:163], s[16:17]
	;; [unrolled: 1-line block ×5, first 2 shown]
	v_fma_f64 v[148:149], v[184:185], s[6:7], -v[188:189]
	v_fma_f64 v[114:115], v[114:115], s[16:17], -v[240:241]
	v_add_f64 v[106:107], v[106:107], v[84:85]
	v_fma_f64 v[188:189], v[184:185], s[6:7], v[188:189]
	v_add_f64 v[102:103], v[144:145], v[102:103]
	v_mul_f64 v[144:145], v[184:185], s[22:23]
	v_add_f64 v[184:185], v[214:215], v[194:195]
	v_add_f64 v[58:59], v[58:59], v[62:63]
	;; [unrolled: 1-line block ×3, first 2 shown]
	v_fma_f64 v[240:241], v[122:123], s[26:27], v[92:93]
	v_fma_f64 v[122:123], v[122:123], s[26:27], -v[92:93]
	v_add_f64 v[106:107], v[114:115], v[106:107]
	v_add_f64 v[92:93], v[188:189], v[102:103]
	;; [unrolled: 1-line block ×7, first 2 shown]
	v_add_f64 v[140:141], v[140:141], -v[212:213]
	v_add_f64 v[106:107], v[122:123], v[106:107]
	v_add_f64 v[122:123], v[246:247], v[164:165]
	;; [unrolled: 1-line block ×8, first 2 shown]
	v_add_f64 v[62:63], v[142:143], -v[220:221]
	v_add_f64 v[140:141], v[36:37], v[140:141]
	v_add_f64 v[120:121], v[238:239], v[120:121]
	v_add_f64 v[102:103], v[122:123], v[102:103]
	v_add_f64 v[56:57], v[128:129], v[170:171]
	v_add_f64 v[114:115], v[114:115], v[118:119]
	v_add_f64 v[46:47], v[46:47], v[50:51]
	v_add_f64 v[44:45], v[44:45], v[48:49]
	v_add_f64 v[58:59], v[146:147], -v[252:253]
	v_add_f64 v[62:63], v[62:63], v[140:141]
	v_add_f64 v[74:75], v[182:183], v[74:75]
	;; [unrolled: 1-line block ×7, first 2 shown]
	v_add_f64 v[44:45], v[70:71], -v[178:179]
	v_add_f64 v[58:59], v[58:59], v[62:63]
	v_add_f64 v[46:47], v[100:101], -v[180:181]
	v_add_f64 v[56:57], v[56:57], v[60:61]
	v_add_f64 v[60:61], v[112:113], v[154:155]
	;; [unrolled: 1-line block ×7, first 2 shown]
	v_add_f64 v[72:73], v[72:73], -v[192:193]
	v_add_f64 v[40:41], v[36:37], v[44:45]
	v_add_f64 v[36:37], v[36:37], v[46:47]
	;; [unrolled: 1-line block ×3, first 2 shown]
	v_add_f64 v[62:63], v[108:109], -v[216:217]
	v_add_f64 v[44:45], v[232:233], v[82:83]
	v_add_f64 v[38:39], v[70:71], v[38:39]
	;; [unrolled: 1-line block ×5, first 2 shown]
	v_mul_f64 v[226:227], v[136:137], s[28:29]
	v_add_f64 v[46:47], v[76:77], -v[222:223]
	v_add_f64 v[32:33], v[72:73], v[40:41]
	v_add_f64 v[234:235], v[242:243], v[234:235]
	v_mul_f64 v[242:243], v[136:137], s[30:31]
	v_add_f64 v[42:43], v[110:111], -v[224:225]
	v_add_f64 v[34:35], v[62:63], v[36:37]
	v_mul_f64 v[136:137], v[136:137], s[36:37]
	v_add_f64 v[40:41], v[248:249], v[88:89]
	v_add_f64 v[38:39], v[44:45], v[38:39]
	;; [unrolled: 1-line block ×4, first 2 shown]
	v_add_f64 v[44:45], v[80:81], -v[226:227]
	v_add_f64 v[28:29], v[46:47], v[32:33]
	v_add_f64 v[36:37], v[116:117], -v[242:243]
	v_add_f64 v[30:31], v[42:43], v[34:35]
	;; [unrolled: 2-line block ×3, first 2 shown]
	v_add_f64 v[38:39], v[40:41], v[38:39]
	v_add_f64 v[22:23], v[22:23], v[26:27]
	;; [unrolled: 1-line block ×3, first 2 shown]
	v_add_f64 v[40:41], v[86:87], -v[94:95]
	v_add_f64 v[24:25], v[44:45], v[28:29]
	v_mul_f64 v[254:255], v[186:187], s[36:37]
	v_add_f64 v[32:33], v[132:133], -v[244:245]
	v_add_f64 v[26:27], v[36:37], v[30:31]
	v_mul_f64 v[190:191], v[186:187], s[0:1]
	v_mul_f64 v[186:187], v[186:187], s[24:25]
	v_add_f64 v[50:51], v[156:157], -v[176:177]
	v_add_f64 v[54:55], v[54:55], v[58:59]
	v_add_f64 v[28:29], v[130:131], v[98:99]
	;; [unrolled: 1-line block ×5, first 2 shown]
	v_add_f64 v[36:37], v[96:97], -v[230:231]
	v_add_f64 v[38:39], v[40:41], v[24:25]
	v_add_f64 v[58:59], v[162:163], v[160:161]
	v_add_f64 v[30:31], v[134:135], -v[254:255]
	v_add_f64 v[32:33], v[32:33], v[26:27]
	v_add_f64 v[52:53], v[144:145], v[174:175]
	;; [unrolled: 3-line block ×3, first 2 shown]
	v_fma_f64 v[148:149], v[172:173], s[6:7], v[190:191]
	v_fma_f64 v[172:173], v[172:173], s[6:7], -v[190:191]
	v_add_f64 v[194:195], v[240:241], v[228:229]
	v_add_f64 v[24:25], v[28:29], v[34:35]
	;; [unrolled: 1-line block ×10, first 2 shown]
	v_mul_u32_u24_e32 v12, 0xd0, v200
	v_add3_u32 v12, 0, v12, v201
	v_add_f64 v[82:83], v[148:149], v[194:195]
	ds_write_b128 v12, v[26:29]
	ds_write_b128 v12, v[22:25] offset:16
	ds_write_b128 v12, v[18:21] offset:32
	ds_write_b128 v12, v[14:17] offset:48
	ds_write_b128 v12, v[90:93] offset:64
	ds_write_b128 v12, v[206:209] offset:80
	ds_write_b128 v12, v[202:205] offset:96
	ds_write_b128 v12, v[64:67] offset:112
	ds_write_b128 v12, v[124:127] offset:128
	ds_write_b128 v12, v[82:85] offset:144
	ds_write_b128 v12, v[0:3] offset:160
	ds_write_b128 v12, v[4:7] offset:176
	ds_write_b128 v12, v[8:11] offset:192
.LBB0_13:
	s_or_b64 exec, exec, s[2:3]
	v_add_u32_e32 v56, 0x5b, v200
	s_movk_i32 s0, 0x4f
	v_add_u32_e32 v57, 0xb6, v200
	v_mul_lo_u16_sdwa v63, v200, s0 dst_sel:DWORD dst_unused:UNUSED_PAD src0_sel:BYTE_0 src1_sel:DWORD
	v_mul_lo_u16_sdwa v61, v56, s0 dst_sel:DWORD dst_unused:UNUSED_PAD src0_sel:BYTE_0 src1_sel:DWORD
	s_movk_i32 s0, 0x4ec5
	v_lshrrev_b16_e32 v82, 10, v63
	v_mul_u32_u24_sdwa v21, v57, s0 dst_sel:DWORD dst_unused:UNUSED_PAD src0_sel:WORD_0 src1_sel:DWORD
	v_mul_lo_u16_e32 v12, 13, v82
	v_lshrrev_b32_e32 v86, 18, v21
	v_sub_u16_e32 v12, v200, v12
	v_mov_b32_e32 v62, 4
	v_lshrrev_b16_e32 v84, 10, v61
	v_mul_lo_u16_e32 v21, 13, v86
	v_add_u32_e32 v20, 0x111, v200
	v_lshlrev_b32_sdwa v83, v62, v12 dst_sel:DWORD dst_unused:UNUSED_PAD src0_sel:DWORD src1_sel:BYTE_0
	v_mul_lo_u16_e32 v12, 13, v84
	v_sub_u16_e32 v21, v57, v21
	v_sub_u16_e32 v12, v56, v12
	v_lshlrev_b32_e32 v87, 4, v21
	v_mul_u32_u24_sdwa v21, v20, s0 dst_sel:DWORD dst_unused:UNUSED_PAD src0_sel:WORD_0 src1_sel:DWORD
	s_waitcnt lgkmcnt(0)
	s_barrier
	v_add_u32_e32 v58, 0x16c, v200
	v_lshlrev_b32_sdwa v85, v62, v12 dst_sel:DWORD dst_unused:UNUSED_PAD src0_sel:DWORD src1_sel:BYTE_0
	global_load_dwordx4 v[12:15], v83, s[8:9]
	global_load_dwordx4 v[16:19], v85, s[8:9]
	v_lshrrev_b32_e32 v88, 18, v21
	v_mul_lo_u16_e32 v21, 13, v88
	v_mul_u32_u24_sdwa v28, v58, s0 dst_sel:DWORD dst_unused:UNUSED_PAD src0_sel:WORD_0 src1_sel:DWORD
	v_sub_u16_e32 v20, v20, v21
	v_lshrrev_b32_e32 v90, 18, v28
	v_lshlrev_b32_e32 v89, 4, v20
	global_load_dwordx4 v[20:23], v87, s[8:9]
	global_load_dwordx4 v[24:27], v89, s[8:9]
	v_mul_lo_u16_e32 v28, 13, v90
	v_sub_u16_e32 v28, v58, v28
	v_lshlrev_b32_e32 v91, 4, v28
	global_load_dwordx4 v[28:31], v91, s[8:9]
	v_lshlrev_b32_e32 v32, 4, v200
	v_add3_u32 v59, 0, v201, v32
	s_movk_i32 s0, 0x1a0
	v_add3_u32 v60, 0, v32, v201
	ds_read_b128 v[32:35], v59
	ds_read_b128 v[36:39], v60 offset:1456
	ds_read_b128 v[40:43], v60 offset:8736
	;; [unrolled: 1-line block ×9, first 2 shown]
	v_mad_u32_u24 v82, v82, s0, 0
	v_mad_u32_u24 v84, v84, s0, 0
	v_add3_u32 v92, v82, v83, v201
	v_add3_u32 v93, v84, v85, v201
	v_mad_u32_u24 v86, v86, s0, 0
	v_add3_u32 v94, v86, v87, v201
	v_mad_u32_u24 v88, v88, s0, 0
	;; [unrolled: 2-line block ×3, first 2 shown]
	v_add3_u32 v96, v90, v91, v201
	s_waitcnt vmcnt(0) lgkmcnt(0)
	s_barrier
	v_cmp_gt_u32_e64 s[0:1], 39, v200
	v_mul_f64 v[82:83], v[66:67], v[14:15]
	v_mul_f64 v[14:15], v[64:65], v[14:15]
	;; [unrolled: 1-line block ×8, first 2 shown]
	v_fma_f64 v[64:65], v[64:65], v[12:13], -v[82:83]
	v_mul_f64 v[90:91], v[80:81], v[30:31]
	v_mul_f64 v[30:31], v[78:79], v[30:31]
	v_fma_f64 v[12:13], v[66:67], v[12:13], v[14:15]
	v_fma_f64 v[14:15], v[40:41], v[16:17], -v[84:85]
	v_fma_f64 v[16:17], v[42:43], v[16:17], v[18:19]
	v_fma_f64 v[18:19], v[44:45], v[20:21], -v[86:87]
	;; [unrolled: 2-line block ×4, first 2 shown]
	v_fma_f64 v[66:67], v[80:81], v[28:29], v[30:31]
	v_add_f64 v[24:25], v[32:33], -v[64:65]
	v_add_f64 v[26:27], v[34:35], -v[12:13]
	v_add_f64 v[28:29], v[36:37], -v[14:15]
	v_add_f64 v[30:31], v[38:39], -v[16:17]
	v_add_f64 v[40:41], v[48:49], -v[18:19]
	v_add_f64 v[42:43], v[50:51], -v[20:21]
	v_add_f64 v[12:13], v[52:53], -v[22:23]
	v_add_f64 v[14:15], v[54:55], -v[44:45]
	v_add_f64 v[20:21], v[70:71], -v[46:47]
	v_add_f64 v[22:23], v[72:73], -v[66:67]
	v_fma_f64 v[32:33], v[32:33], 2.0, -v[24:25]
	v_fma_f64 v[34:35], v[34:35], 2.0, -v[26:27]
	;; [unrolled: 1-line block ×10, first 2 shown]
	ds_write_b128 v92, v[24:27] offset:208
	ds_write_b128 v92, v[32:35]
	ds_write_b128 v93, v[36:39]
	ds_write_b128 v93, v[28:31] offset:208
	ds_write_b128 v94, v[44:47]
	ds_write_b128 v94, v[40:43] offset:208
	;; [unrolled: 2-line block ×4, first 2 shown]
	s_waitcnt lgkmcnt(0)
	s_barrier
	ds_read_b128 v[28:31], v59
	ds_read_b128 v[48:51], v60 offset:2080
	ds_read_b128 v[44:47], v60 offset:4160
	;; [unrolled: 1-line block ×6, first 2 shown]
                                        ; implicit-def: $vgpr26_vgpr27
	s_and_saveexec_b64 s[2:3], s[0:1]
	s_cbranch_execz .LBB0_15
; %bb.14:
	ds_read_b128 v[12:15], v60 offset:1456
	ds_read_b128 v[16:19], v60 offset:3536
	;; [unrolled: 1-line block ×7, first 2 shown]
.LBB0_15:
	s_or_b64 exec, exec, s[2:3]
	v_lshrrev_b16_e32 v90, 11, v63
	v_mul_lo_u16_e32 v63, 26, v90
	v_sub_u16_e32 v91, v200, v63
	v_mov_b32_e32 v63, 6
	v_mul_u32_u24_sdwa v64, v91, v63 dst_sel:DWORD dst_unused:UNUSED_PAD src0_sel:BYTE_0 src1_sel:DWORD
	v_lshlrev_b32_e32 v92, 4, v64
	global_load_dwordx4 v[64:67], v92, s[8:9] offset:208
	global_load_dwordx4 v[70:73], v92, s[8:9] offset:224
	;; [unrolled: 1-line block ×6, first 2 shown]
	s_movk_i32 s30, 0xb60
	v_mad_u32_u24 v90, v90, s30, 0
	v_lshlrev_b32_sdwa v62, v62, v91 dst_sel:DWORD dst_unused:UNUSED_PAD src0_sel:DWORD src1_sel:BYTE_0
	v_add3_u32 v62, v90, v62, v201
	s_mov_b32 s2, 0x37e14327
	s_mov_b32 s4, 0x36b3c0b5
	s_mov_b32 s16, 0xe976ee23
	s_mov_b32 s3, 0x3fe948f6
	s_mov_b32 s5, 0x3fac98ee
	s_mov_b32 s17, 0xbfe11646
	s_mov_b32 s6, 0x429ad128
	s_mov_b32 s7, 0x3febfeb5
	s_mov_b32 s10, 0xaaaaaaaa
	s_mov_b32 s18, 0x5476071b
	s_mov_b32 s22, 0xb247c609
	s_mov_b32 s11, 0xbff2aaaa
	s_mov_b32 s19, 0x3fe77f67
	s_mov_b32 s21, 0xbfe77f67
	s_mov_b32 s23, 0x3fd5d0dc
	s_mov_b32 s20, s18
	s_mov_b32 s27, 0xbfd5d0dc
	s_mov_b32 s26, s22
	s_mov_b32 s24, 0x37c3f68c
	s_mov_b32 s25, 0x3fdc38aa
	s_waitcnt vmcnt(0) lgkmcnt(0)
	s_barrier
	v_mul_f64 v[90:91], v[50:51], v[66:67]
	v_mul_f64 v[66:67], v[48:49], v[66:67]
	;; [unrolled: 1-line block ×12, first 2 shown]
	v_fma_f64 v[48:49], v[48:49], v[64:65], -v[90:91]
	v_fma_f64 v[50:51], v[50:51], v[64:65], v[66:67]
	v_fma_f64 v[44:45], v[44:45], v[70:71], -v[92:93]
	v_fma_f64 v[46:47], v[46:47], v[70:71], v[72:73]
	;; [unrolled: 2-line block ×6, first 2 shown]
	v_add_f64 v[64:65], v[48:49], v[52:53]
	v_add_f64 v[66:67], v[50:51], v[54:55]
	v_add_f64 v[48:49], v[48:49], -v[52:53]
	v_add_f64 v[50:51], v[50:51], -v[54:55]
	v_add_f64 v[52:53], v[44:45], v[40:41]
	v_add_f64 v[54:55], v[46:47], v[42:43]
	v_add_f64 v[40:41], v[44:45], -v[40:41]
	v_add_f64 v[42:43], v[46:47], -v[42:43]
	;; [unrolled: 4-line block ×4, first 2 shown]
	v_add_f64 v[64:65], v[64:65], -v[44:45]
	v_add_f64 v[66:67], v[66:67], -v[46:47]
	;; [unrolled: 1-line block ×4, first 2 shown]
	v_add_f64 v[74:75], v[32:33], v[40:41]
	v_add_f64 v[76:77], v[34:35], v[42:43]
	v_add_f64 v[78:79], v[32:33], -v[40:41]
	v_add_f64 v[80:81], v[34:35], -v[42:43]
	v_add_f64 v[36:37], v[44:45], v[36:37]
	v_add_f64 v[38:39], v[46:47], v[38:39]
	v_add_f64 v[40:41], v[40:41], -v[48:49]
	v_add_f64 v[42:43], v[42:43], -v[50:51]
	;; [unrolled: 1-line block ×4, first 2 shown]
	v_add_f64 v[44:45], v[74:75], v[48:49]
	v_add_f64 v[46:47], v[76:77], v[50:51]
	v_mul_f64 v[48:49], v[64:65], s[2:3]
	v_mul_f64 v[50:51], v[66:67], s[2:3]
	;; [unrolled: 1-line block ×6, first 2 shown]
	v_add_f64 v[28:29], v[28:29], v[36:37]
	v_add_f64 v[30:31], v[30:31], v[38:39]
	v_mul_f64 v[78:79], v[40:41], s[6:7]
	v_mul_f64 v[80:81], v[42:43], s[6:7]
	v_fma_f64 v[52:53], v[52:53], s[4:5], v[48:49]
	v_fma_f64 v[54:55], v[54:55], s[4:5], v[50:51]
	v_fma_f64 v[64:65], v[70:71], s[18:19], -v[64:65]
	v_fma_f64 v[66:67], v[72:73], s[18:19], -v[66:67]
	;; [unrolled: 1-line block ×4, first 2 shown]
	v_fma_f64 v[70:71], v[32:33], s[22:23], v[74:75]
	v_fma_f64 v[72:73], v[34:35], s[22:23], v[76:77]
	;; [unrolled: 1-line block ×4, first 2 shown]
	v_fma_f64 v[32:33], v[32:33], s[26:27], -v[78:79]
	v_fma_f64 v[34:35], v[34:35], s[26:27], -v[80:81]
	;; [unrolled: 1-line block ×4, first 2 shown]
	v_fma_f64 v[70:71], v[44:45], s[24:25], v[70:71]
	v_fma_f64 v[72:73], v[46:47], s[24:25], v[72:73]
	v_add_f64 v[52:53], v[52:53], v[36:37]
	v_add_f64 v[54:55], v[54:55], v[38:39]
	v_fma_f64 v[78:79], v[44:45], s[24:25], v[32:33]
	v_fma_f64 v[80:81], v[46:47], s[24:25], v[34:35]
	v_add_f64 v[48:49], v[48:49], v[36:37]
	v_add_f64 v[50:51], v[50:51], v[38:39]
	;; [unrolled: 4-line block ×3, first 2 shown]
	v_add_f64 v[32:33], v[72:73], v[52:53]
	v_add_f64 v[34:35], v[54:55], -v[70:71]
	v_add_f64 v[36:37], v[80:81], v[48:49]
	v_add_f64 v[38:39], v[50:51], -v[78:79]
	v_add_f64 v[48:49], v[48:49], -v[80:81]
	v_add_f64 v[50:51], v[78:79], v[50:51]
	v_add_f64 v[40:41], v[44:45], -v[76:77]
	v_add_f64 v[42:43], v[74:75], v[46:47]
	v_add_f64 v[44:45], v[76:77], v[44:45]
	v_add_f64 v[46:47], v[46:47], -v[74:75]
	v_add_f64 v[52:53], v[52:53], -v[72:73]
	v_add_f64 v[54:55], v[70:71], v[54:55]
	ds_write_b128 v62, v[28:31]
	ds_write_b128 v62, v[32:35] offset:416
	ds_write_b128 v62, v[36:39] offset:832
	;; [unrolled: 1-line block ×6, first 2 shown]
	s_and_saveexec_b64 s[28:29], s[0:1]
	s_cbranch_execz .LBB0_17
; %bb.16:
	v_lshrrev_b16_e32 v67, 11, v61
	v_mul_lo_u16_e32 v28, 26, v67
	v_sub_u16_e32 v72, v56, v28
	v_mul_u32_u24_sdwa v28, v72, v63 dst_sel:DWORD dst_unused:UNUSED_PAD src0_sel:BYTE_0 src1_sel:DWORD
	v_lshlrev_b32_e32 v52, 4, v28
	global_load_dwordx4 v[28:31], v52, s[8:9] offset:256
	global_load_dwordx4 v[32:35], v52, s[8:9] offset:240
	;; [unrolled: 1-line block ×6, first 2 shown]
	v_mov_b32_e32 v73, 4
	s_waitcnt vmcnt(5)
	v_mul_f64 v[52:53], v[6:7], v[30:31]
	s_waitcnt vmcnt(4)
	v_mul_f64 v[54:55], v[2:3], v[34:35]
	;; [unrolled: 2-line block ×6, first 2 shown]
	v_mul_f64 v[38:39], v[20:21], v[38:39]
	v_mul_f64 v[42:43], v[8:9], v[42:43]
	;; [unrolled: 1-line block ×6, first 2 shown]
	v_fma_f64 v[4:5], v[4:5], v[28:29], -v[52:53]
	v_fma_f64 v[0:1], v[0:1], v[32:33], -v[54:55]
	;; [unrolled: 1-line block ×6, first 2 shown]
	v_fma_f64 v[22:23], v[22:23], v[36:37], v[38:39]
	v_fma_f64 v[10:11], v[10:11], v[40:41], v[42:43]
	v_fma_f64 v[18:19], v[18:19], v[44:45], v[46:47]
	v_fma_f64 v[26:27], v[26:27], v[48:49], v[50:51]
	v_fma_f64 v[2:3], v[2:3], v[32:33], v[34:35]
	v_fma_f64 v[6:7], v[6:7], v[28:29], v[30:31]
	v_add_f64 v[28:29], v[4:5], -v[0:1]
	v_add_f64 v[30:31], v[20:21], -v[8:9]
	v_add_f64 v[0:1], v[0:1], v[4:5]
	v_add_f64 v[36:37], v[22:23], v[10:11]
	;; [unrolled: 1-line block ×5, first 2 shown]
	v_add_f64 v[32:33], v[16:17], -v[24:25]
	v_add_f64 v[34:35], v[2:3], v[6:7]
	v_add_f64 v[2:3], v[6:7], -v[2:3]
	v_add_f64 v[6:7], v[22:23], -v[10:11]
	v_add_f64 v[10:11], v[18:19], -v[26:27]
	v_add_f64 v[16:17], v[28:29], v[30:31]
	v_add_f64 v[26:27], v[36:37], v[38:39]
	;; [unrolled: 1-line block ×3, first 2 shown]
	v_add_f64 v[18:19], v[28:29], -v[30:31]
	v_add_f64 v[20:21], v[32:33], -v[28:29]
	;; [unrolled: 1-line block ×9, first 2 shown]
	v_add_f64 v[26:27], v[34:35], v[26:27]
	v_add_f64 v[38:39], v[0:1], v[42:43]
	;; [unrolled: 1-line block ×3, first 2 shown]
	v_add_f64 v[6:7], v[6:7], -v[10:11]
	v_add_f64 v[48:49], v[10:11], -v[2:3]
	;; [unrolled: 1-line block ×3, first 2 shown]
	v_add_f64 v[8:9], v[16:17], v[32:33]
	v_mul_f64 v[16:17], v[18:19], s[16:17]
	v_mul_f64 v[24:25], v[24:25], s[2:3]
	;; [unrolled: 1-line block ×6, first 2 shown]
	v_add_f64 v[2:3], v[14:15], v[26:27]
	v_add_f64 v[0:1], v[12:13], v[38:39]
	;; [unrolled: 1-line block ×3, first 2 shown]
	v_mul_f64 v[44:45], v[6:7], s[6:7]
	v_mul_f64 v[18:19], v[22:23], s[4:5]
	v_fma_f64 v[46:47], v[20:21], s[22:23], v[16:17]
	v_fma_f64 v[22:23], v[22:23], s[4:5], v[24:25]
	;; [unrolled: 1-line block ×4, first 2 shown]
	v_fma_f64 v[20:21], v[20:21], s[26:27], -v[42:43]
	v_fma_f64 v[28:29], v[4:5], s[20:21], -v[34:35]
	;; [unrolled: 1-line block ×3, first 2 shown]
	v_fma_f64 v[26:27], v[26:27], s[10:11], v[2:3]
	v_fma_f64 v[4:5], v[4:5], s[18:19], -v[32:33]
	v_fma_f64 v[32:33], v[38:39], s[10:11], v[0:1]
	v_fma_f64 v[24:25], v[36:37], s[20:21], -v[24:25]
	v_fma_f64 v[34:35], v[48:49], s[26:27], -v[44:45]
	;; [unrolled: 1-line block ×4, first 2 shown]
	v_fma_f64 v[30:31], v[8:9], s[24:25], v[46:47]
	v_fma_f64 v[36:37], v[10:11], s[24:25], v[12:13]
	;; [unrolled: 1-line block ×4, first 2 shown]
	v_add_f64 v[16:17], v[22:23], v[26:27]
	v_add_f64 v[40:41], v[14:15], v[32:33]
	;; [unrolled: 1-line block ×3, first 2 shown]
	v_fma_f64 v[34:35], v[10:11], s[24:25], v[34:35]
	v_add_f64 v[28:29], v[28:29], v[32:33]
	v_add_f64 v[18:19], v[18:19], v[26:27]
	v_fma_f64 v[38:39], v[10:11], s[24:25], v[6:7]
	v_add_f64 v[4:5], v[4:5], v[32:33]
	v_add_f64 v[26:27], v[16:17], -v[30:31]
	v_add_f64 v[24:25], v[36:37], v[40:41]
	v_add_f64 v[10:11], v[12:13], v[20:21]
	v_add_f64 v[22:23], v[20:21], -v[12:13]
	v_add_f64 v[20:21], v[34:35], v[28:29]
	v_add_f64 v[6:7], v[30:31], v[16:17]
	v_add_f64 v[14:15], v[18:19], -v[8:9]
	v_add_f64 v[18:19], v[8:9], v[18:19]
	v_add_f64 v[16:17], v[4:5], -v[38:39]
	v_add_f64 v[12:13], v[38:39], v[4:5]
	v_add_f64 v[8:9], v[28:29], -v[34:35]
	v_mad_u32_u24 v50, v67, s30, 0
	v_lshlrev_b32_sdwa v51, v73, v72 dst_sel:DWORD dst_unused:UNUSED_PAD src0_sel:DWORD src1_sel:BYTE_0
	v_add_f64 v[4:5], v[40:41], -v[36:37]
	v_add3_u32 v28, v50, v51, v201
	ds_write_b128 v28, v[0:3]
	ds_write_b128 v28, v[24:27] offset:416
	ds_write_b128 v28, v[20:23] offset:832
	;; [unrolled: 1-line block ×6, first 2 shown]
.LBB0_17:
	s_or_b64 exec, exec, s[28:29]
	s_waitcnt lgkmcnt(0)
	s_barrier
	s_and_saveexec_b64 s[0:1], vcc
	s_cbranch_execz .LBB0_19
; %bb.18:
	v_lshlrev_b32_e32 v16, 2, v56
	v_mov_b32_e32 v17, 0
	v_lshlrev_b64 v[0:1], 4, v[16:17]
	v_mov_b32_e32 v20, s9
	v_add_co_u32_e32 v18, vcc, s8, v0
	v_addc_co_u32_e32 v19, vcc, v20, v1, vcc
	global_load_dwordx4 v[0:3], v[18:19], off offset:2752
	global_load_dwordx4 v[4:7], v[18:19], off offset:2736
	;; [unrolled: 1-line block ×4, first 2 shown]
	v_lshlrev_b32_e32 v16, 2, v200
	v_lshlrev_b64 v[16:17], 4, v[16:17]
	s_mov_b32 s6, 0x134454ff
	v_add_co_u32_e32 v32, vcc, s8, v16
	v_addc_co_u32_e32 v33, vcc, v20, v17, vcc
	global_load_dwordx4 v[16:19], v[32:33], off offset:2720
	global_load_dwordx4 v[20:23], v[32:33], off offset:2704
	;; [unrolled: 1-line block ×4, first 2 shown]
	ds_read_b128 v[32:35], v60 offset:7280
	ds_read_b128 v[36:39], v60 offset:5824
	;; [unrolled: 1-line block ×9, first 2 shown]
	ds_read_b128 v[78:81], v59
	s_mov_b32 s7, 0xbfee6f0e
	s_mov_b32 s9, 0x3fee6f0e
	;; [unrolled: 1-line block ×9, first 2 shown]
	s_waitcnt vmcnt(7) lgkmcnt(3)
	v_mul_f64 v[84:85], v[0:1], v[63:64]
	s_waitcnt vmcnt(6)
	v_mul_f64 v[82:83], v[4:5], v[50:51]
	s_waitcnt vmcnt(5)
	;; [unrolled: 2-line block ×3, first 2 shown]
	v_mul_f64 v[65:66], v[12:13], v[42:43]
	v_mul_f64 v[42:43], v[14:15], v[42:43]
	;; [unrolled: 1-line block ×5, first 2 shown]
	s_waitcnt vmcnt(3)
	v_mul_f64 v[86:87], v[16:17], v[38:39]
	s_waitcnt vmcnt(2)
	v_mul_f64 v[88:89], v[20:21], v[46:47]
	v_mul_f64 v[46:47], v[22:23], v[46:47]
	s_waitcnt vmcnt(0) lgkmcnt(2)
	v_mul_f64 v[92:93], v[28:29], v[72:73]
	v_mul_f64 v[72:73], v[30:31], v[72:73]
	;; [unrolled: 1-line block ×3, first 2 shown]
	v_fma_f64 v[10:11], v[10:11], v[32:33], v[59:60]
	v_fma_f64 v[14:15], v[14:15], v[40:41], v[65:66]
	;; [unrolled: 1-line block ×4, first 2 shown]
	v_fma_f64 v[12:13], v[40:41], v[12:13], -v[42:43]
	v_fma_f64 v[0:1], v[61:62], v[0:1], -v[63:64]
	v_mul_f64 v[90:91], v[24:25], v[54:55]
	v_mul_f64 v[54:55], v[26:27], v[54:55]
	v_fma_f64 v[8:9], v[32:33], v[8:9], -v[34:35]
	v_fma_f64 v[32:33], v[48:49], v[4:5], -v[50:51]
	v_fma_f64 v[34:35], v[18:19], v[36:37], v[86:87]
	v_fma_f64 v[40:41], v[22:23], v[44:45], v[88:89]
	;; [unrolled: 1-line block ×3, first 2 shown]
	v_fma_f64 v[20:21], v[44:45], v[20:21], -v[46:47]
	v_fma_f64 v[44:45], v[70:71], v[28:29], -v[72:73]
	;; [unrolled: 1-line block ×3, first 2 shown]
	v_add_f64 v[4:5], v[10:11], -v[14:15]
	v_add_f64 v[16:17], v[6:7], -v[2:3]
	v_add_f64 v[22:23], v[14:15], v[2:3]
	v_add_f64 v[30:31], v[14:15], -v[10:11]
	v_add_f64 v[36:37], v[2:3], -v[6:7]
	v_add_f64 v[38:39], v[10:11], v[6:7]
	s_waitcnt lgkmcnt(1)
	v_add_f64 v[46:47], v[14:15], v[76:77]
	v_add_f64 v[59:60], v[12:13], v[0:1]
	v_fma_f64 v[42:43], v[26:27], v[52:53], v[90:91]
	v_fma_f64 v[24:25], v[52:53], v[24:25], -v[54:55]
	v_add_f64 v[50:51], v[8:9], -v[12:13]
	v_add_f64 v[52:53], v[32:33], -v[0:1]
	v_add_f64 v[65:66], v[8:9], v[32:33]
	v_add_f64 v[18:19], v[12:13], -v[0:1]
	v_add_f64 v[26:27], v[8:9], -v[32:33]
	;; [unrolled: 1-line block ×4, first 2 shown]
	v_add_f64 v[12:13], v[12:13], v[74:75]
	v_add_f64 v[4:5], v[4:5], v[16:17]
	v_fma_f64 v[16:17], v[22:23], -0.5, v[76:77]
	v_add_f64 v[22:23], v[30:31], v[36:37]
	v_fma_f64 v[30:31], v[38:39], -0.5, v[76:77]
	;; [unrolled: 2-line block ×3, first 2 shown]
	v_add_f64 v[14:15], v[14:15], -v[2:3]
	v_add_f64 v[63:64], v[0:1], -v[32:33]
	v_add_f64 v[36:37], v[50:51], v[52:53]
	v_fma_f64 v[50:51], v[65:66], -0.5, v[74:75]
	v_add_f64 v[52:53], v[8:9], v[12:13]
	v_fma_f64 v[8:9], v[26:27], s[6:7], v[16:17]
	v_fma_f64 v[12:13], v[26:27], s[8:9], v[16:17]
	;; [unrolled: 1-line block ×4, first 2 shown]
	v_add_f64 v[6:7], v[6:7], v[10:11]
	v_fma_f64 v[10:11], v[54:55], s[8:9], v[38:39]
	v_add_f64 v[82:83], v[40:41], v[48:49]
	v_fma_f64 v[38:39], v[54:55], s[6:7], v[38:39]
	;; [unrolled: 2-line block ×3, first 2 shown]
	v_fma_f64 v[50:51], v[14:15], s[8:9], v[50:51]
	v_add_f64 v[86:87], v[34:35], v[42:43]
	v_fma_f64 v[8:9], v[18:19], s[2:3], v[8:9]
	v_fma_f64 v[12:13], v[18:19], s[4:5], v[12:13]
	;; [unrolled: 1-line block ×5, first 2 shown]
	v_add_f64 v[84:85], v[28:29], -v[24:25]
	s_waitcnt lgkmcnt(0)
	v_fma_f64 v[59:60], v[82:83], -0.5, v[80:81]
	v_fma_f64 v[30:31], v[14:15], s[2:3], v[38:39]
	v_fma_f64 v[38:39], v[54:55], s[4:5], v[61:62]
	;; [unrolled: 1-line block ×3, first 2 shown]
	v_add_f64 v[2:3], v[2:3], v[6:7]
	v_fma_f64 v[6:7], v[4:5], s[0:1], v[8:9]
	v_fma_f64 v[10:11], v[4:5], s[0:1], v[12:13]
	;; [unrolled: 1-line block ×5, first 2 shown]
	v_add_f64 v[22:23], v[20:21], -v[44:45]
	v_fma_f64 v[26:27], v[86:87], -0.5, v[80:81]
	v_add_f64 v[70:71], v[34:35], -v[40:41]
	v_add_f64 v[72:73], v[42:43], -v[48:49]
	v_fma_f64 v[8:9], v[36:37], s[0:1], v[30:31]
	v_add_f64 v[30:31], v[32:33], v[52:53]
	v_fma_f64 v[32:33], v[84:85], s[6:7], v[59:60]
	v_fma_f64 v[12:13], v[46:47], s[0:1], v[38:39]
	;; [unrolled: 1-line block ×4, first 2 shown]
	v_add_f64 v[38:39], v[40:41], -v[34:35]
	v_add_f64 v[46:47], v[48:49], -v[42:43]
	v_fma_f64 v[52:53], v[22:23], s[8:9], v[26:27]
	v_fma_f64 v[26:27], v[22:23], s[6:7], v[26:27]
	v_add_f64 v[54:55], v[40:41], v[80:81]
	v_add_f64 v[50:51], v[70:71], v[72:73]
	v_fma_f64 v[32:33], v[22:23], s[2:3], v[32:33]
	v_add_f64 v[0:1], v[0:1], v[30:31]
	v_fma_f64 v[30:31], v[22:23], s[4:5], v[36:37]
	v_add_f64 v[36:37], v[38:39], v[46:47]
	v_add_f64 v[38:39], v[20:21], v[44:45]
	v_fma_f64 v[46:47], v[84:85], s[2:3], v[52:53]
	v_fma_f64 v[52:53], v[84:85], s[4:5], v[26:27]
	v_add_f64 v[54:55], v[34:35], v[54:55]
	v_fma_f64 v[22:23], v[50:51], s[0:1], v[32:33]
	v_add_f64 v[32:33], v[28:29], v[24:25]
	v_fma_f64 v[26:27], v[50:51], s[0:1], v[30:31]
	v_add_f64 v[50:51], v[34:35], -v[42:43]
	v_fma_f64 v[38:39], v[38:39], -0.5, v[78:79]
	v_fma_f64 v[30:31], v[36:37], s[0:1], v[46:47]
	v_fma_f64 v[34:35], v[36:37], s[0:1], v[52:53]
	v_add_f64 v[36:37], v[42:43], v[54:55]
	v_add_f64 v[54:55], v[20:21], v[78:79]
	v_add_f64 v[40:41], v[40:41], -v[48:49]
	v_fma_f64 v[32:33], v[32:33], -0.5, v[78:79]
	v_add_f64 v[42:43], v[28:29], -v[20:21]
	v_add_f64 v[46:47], v[24:25], -v[44:45]
	v_fma_f64 v[52:53], v[50:51], s[8:9], v[38:39]
	v_fma_f64 v[59:60], v[50:51], s[6:7], v[38:39]
	v_add_f64 v[20:21], v[20:21], -v[28:29]
	v_add_f64 v[28:29], v[28:29], v[54:55]
	v_add_f64 v[61:62], v[44:45], -v[24:25]
	v_fma_f64 v[63:64], v[40:41], s[6:7], v[32:33]
	v_fma_f64 v[32:33], v[40:41], s[8:9], v[32:33]
	v_add_f64 v[38:39], v[48:49], v[36:37]
	v_add_f64 v[36:37], v[42:43], v[46:47]
	v_fma_f64 v[42:43], v[40:41], s[4:5], v[52:53]
	v_fma_f64 v[40:41], v[40:41], s[2:3], v[59:60]
	v_add_f64 v[52:53], v[24:25], v[28:29]
	v_add_f64 v[46:47], v[20:21], v[61:62]
	v_fma_f64 v[48:49], v[50:51], s[4:5], v[63:64]
	v_fma_f64 v[32:33], v[50:51], s[2:3], v[32:33]
	v_mad_u64_u32 v[50:51], s[2:3], s12, v200, 0
	v_fma_f64 v[20:21], v[36:37], s[0:1], v[42:43]
	v_fma_f64 v[24:25], v[36:37], s[0:1], v[40:41]
	v_mov_b32_e32 v28, v51
	v_mad_u64_u32 v[40:41], s[2:3], s13, v200, v[28:29]
	v_add_f64 v[36:37], v[44:45], v[52:53]
	v_fma_f64 v[28:29], v[46:47], s[0:1], v[48:49]
	v_fma_f64 v[32:33], v[46:47], s[0:1], v[32:33]
	v_mov_b32_e32 v51, v40
	v_mad_u64_u32 v[40:41], s[0:1], s12, v57, 0
	v_mov_b32_e32 v42, s15
	v_add_co_u32_e32 v46, vcc, s14, v68
	v_addc_co_u32_e32 v47, vcc, v42, v69, vcc
	v_lshlrev_b64 v[42:43], 4, v[50:51]
	s_movk_i32 s2, 0x2d8
	v_mad_u64_u32 v[44:45], s[0:1], s13, v57, v[41:42]
	v_add_co_u32_e32 v41, vcc, v46, v42
	v_addc_co_u32_e32 v42, vcc, v47, v43, vcc
	global_store_dwordx4 v[41:42], v[36:39], off
	v_mov_b32_e32 v41, v44
	v_mad_u64_u32 v[38:39], s[0:1], s12, v58, 0
	v_lshlrev_b64 v[36:37], 4, v[40:41]
	v_add_u32_e32 v42, 0x222, v200
	v_mad_u64_u32 v[39:40], s[0:1], s13, v58, v[39:40]
	v_add_co_u32_e32 v36, vcc, v46, v36
	v_mad_u64_u32 v[40:41], s[0:1], s12, v42, 0
	v_addc_co_u32_e32 v37, vcc, v47, v37, vcc
	global_store_dwordx4 v[36:37], v[32:35], off
	s_nop 0
	v_lshlrev_b64 v[32:33], 4, v[38:39]
	v_mov_b32_e32 v34, v41
	v_add_co_u32_e32 v32, vcc, v46, v32
	v_mad_u64_u32 v[34:35], s[0:1], s13, v42, v[34:35]
	v_addc_co_u32_e32 v33, vcc, v47, v33, vcc
	global_store_dwordx4 v[32:33], v[24:27], off
	v_add_u32_e32 v32, 0x2d8, v200
	v_mad_u64_u32 v[26:27], s[0:1], s12, v32, 0
	v_lshrrev_b32_e32 v33, 1, v56
	s_mov_b32 s0, 0xb40b40b5
	v_mov_b32_e32 v41, v34
	v_mul_hi_u32 v34, v33, s0
	v_mad_u64_u32 v[32:33], s[0:1], s13, v32, v[27:28]
	v_lshlrev_b64 v[24:25], 4, v[40:41]
	v_lshrrev_b32_e32 v27, 6, v34
	v_mad_u32_u24 v35, v27, s2, v56
	v_mad_u64_u32 v[33:34], s[0:1], s12, v35, 0
	v_add_co_u32_e32 v24, vcc, v46, v24
	v_addc_co_u32_e32 v25, vcc, v47, v25, vcc
	global_store_dwordx4 v[24:25], v[20:23], off
	v_add_u32_e32 v24, 0xb6, v35
	v_mov_b32_e32 v22, v34
	v_mad_u64_u32 v[22:23], s[0:1], s13, v35, v[22:23]
	v_mov_b32_e32 v27, v32
	v_lshlrev_b64 v[20:21], 4, v[26:27]
	v_mov_b32_e32 v34, v22
	v_mad_u64_u32 v[22:23], s[0:1], s12, v24, 0
	v_add_co_u32_e32 v20, vcc, v46, v20
	v_addc_co_u32_e32 v21, vcc, v47, v21, vcc
	v_mad_u64_u32 v[23:24], s[0:1], s13, v24, v[23:24]
	v_add_u32_e32 v26, 0x16c, v35
	global_store_dwordx4 v[20:21], v[28:31], off
	v_lshlrev_b64 v[20:21], 4, v[33:34]
	v_mad_u64_u32 v[24:25], s[0:1], s12, v26, 0
	v_add_co_u32_e32 v20, vcc, v46, v20
	v_addc_co_u32_e32 v21, vcc, v47, v21, vcc
	global_store_dwordx4 v[20:21], v[0:3], off
	s_nop 0
	v_lshlrev_b64 v[0:1], 4, v[22:23]
	v_mov_b32_e32 v2, v25
	v_mad_u64_u32 v[2:3], s[0:1], s13, v26, v[2:3]
	v_add_co_u32_e32 v0, vcc, v46, v0
	v_addc_co_u32_e32 v1, vcc, v47, v1, vcc
	global_store_dwordx4 v[0:1], v[16:19], off
	v_mov_b32_e32 v25, v2
	v_add_u32_e32 v16, 0x222, v35
	v_mad_u64_u32 v[2:3], s[0:1], s12, v16, 0
	v_add_u32_e32 v19, 0x2d8, v35
	v_lshlrev_b64 v[0:1], 4, v[24:25]
	v_mad_u64_u32 v[16:17], s[0:1], s13, v16, v[3:4]
	v_mad_u64_u32 v[17:18], s[0:1], s12, v19, 0
	v_add_co_u32_e32 v0, vcc, v46, v0
	v_addc_co_u32_e32 v1, vcc, v47, v1, vcc
	v_mov_b32_e32 v3, v16
	global_store_dwordx4 v[0:1], v[8:11], off
	v_lshlrev_b64 v[0:1], 4, v[2:3]
	v_mov_b32_e32 v2, v18
	v_mad_u64_u32 v[2:3], s[0:1], s13, v19, v[2:3]
	v_add_co_u32_e32 v0, vcc, v46, v0
	v_addc_co_u32_e32 v1, vcc, v47, v1, vcc
	v_mov_b32_e32 v18, v2
	global_store_dwordx4 v[0:1], v[4:7], off
	v_lshlrev_b64 v[0:1], 4, v[17:18]
	v_add_co_u32_e32 v0, vcc, v46, v0
	v_addc_co_u32_e32 v1, vcc, v47, v1, vcc
	global_store_dwordx4 v[0:1], v[12:15], off
.LBB0_19:
	s_endpgm
	.section	.rodata,"a",@progbits
	.p2align	6, 0x0
	.amdhsa_kernel fft_rtc_fwd_len910_factors_13_2_7_5_wgs_182_tpt_91_dp_ip_CI_sbrr_dirReg
		.amdhsa_group_segment_fixed_size 0
		.amdhsa_private_segment_fixed_size 0
		.amdhsa_kernarg_size 88
		.amdhsa_user_sgpr_count 6
		.amdhsa_user_sgpr_private_segment_buffer 1
		.amdhsa_user_sgpr_dispatch_ptr 0
		.amdhsa_user_sgpr_queue_ptr 0
		.amdhsa_user_sgpr_kernarg_segment_ptr 1
		.amdhsa_user_sgpr_dispatch_id 0
		.amdhsa_user_sgpr_flat_scratch_init 0
		.amdhsa_user_sgpr_private_segment_size 0
		.amdhsa_uses_dynamic_stack 0
		.amdhsa_system_sgpr_private_segment_wavefront_offset 0
		.amdhsa_system_sgpr_workgroup_id_x 1
		.amdhsa_system_sgpr_workgroup_id_y 0
		.amdhsa_system_sgpr_workgroup_id_z 0
		.amdhsa_system_sgpr_workgroup_info 0
		.amdhsa_system_vgpr_workitem_id 0
		.amdhsa_next_free_vgpr 256
		.amdhsa_next_free_sgpr 44
		.amdhsa_reserve_vcc 1
		.amdhsa_reserve_flat_scratch 0
		.amdhsa_float_round_mode_32 0
		.amdhsa_float_round_mode_16_64 0
		.amdhsa_float_denorm_mode_32 3
		.amdhsa_float_denorm_mode_16_64 3
		.amdhsa_dx10_clamp 1
		.amdhsa_ieee_mode 1
		.amdhsa_fp16_overflow 0
		.amdhsa_exception_fp_ieee_invalid_op 0
		.amdhsa_exception_fp_denorm_src 0
		.amdhsa_exception_fp_ieee_div_zero 0
		.amdhsa_exception_fp_ieee_overflow 0
		.amdhsa_exception_fp_ieee_underflow 0
		.amdhsa_exception_fp_ieee_inexact 0
		.amdhsa_exception_int_div_zero 0
	.end_amdhsa_kernel
	.text
.Lfunc_end0:
	.size	fft_rtc_fwd_len910_factors_13_2_7_5_wgs_182_tpt_91_dp_ip_CI_sbrr_dirReg, .Lfunc_end0-fft_rtc_fwd_len910_factors_13_2_7_5_wgs_182_tpt_91_dp_ip_CI_sbrr_dirReg
                                        ; -- End function
	.section	.AMDGPU.csdata,"",@progbits
; Kernel info:
; codeLenInByte = 11064
; NumSgprs: 48
; NumVgprs: 256
; ScratchSize: 0
; MemoryBound: 1
; FloatMode: 240
; IeeeMode: 1
; LDSByteSize: 0 bytes/workgroup (compile time only)
; SGPRBlocks: 5
; VGPRBlocks: 63
; NumSGPRsForWavesPerEU: 48
; NumVGPRsForWavesPerEU: 256
; Occupancy: 1
; WaveLimiterHint : 1
; COMPUTE_PGM_RSRC2:SCRATCH_EN: 0
; COMPUTE_PGM_RSRC2:USER_SGPR: 6
; COMPUTE_PGM_RSRC2:TRAP_HANDLER: 0
; COMPUTE_PGM_RSRC2:TGID_X_EN: 1
; COMPUTE_PGM_RSRC2:TGID_Y_EN: 0
; COMPUTE_PGM_RSRC2:TGID_Z_EN: 0
; COMPUTE_PGM_RSRC2:TIDIG_COMP_CNT: 0
	.type	__hip_cuid_2a79c34b154adea0,@object ; @__hip_cuid_2a79c34b154adea0
	.section	.bss,"aw",@nobits
	.globl	__hip_cuid_2a79c34b154adea0
__hip_cuid_2a79c34b154adea0:
	.byte	0                               ; 0x0
	.size	__hip_cuid_2a79c34b154adea0, 1

	.ident	"AMD clang version 19.0.0git (https://github.com/RadeonOpenCompute/llvm-project roc-6.4.0 25133 c7fe45cf4b819c5991fe208aaa96edf142730f1d)"
	.section	".note.GNU-stack","",@progbits
	.addrsig
	.addrsig_sym __hip_cuid_2a79c34b154adea0
	.amdgpu_metadata
---
amdhsa.kernels:
  - .args:
      - .actual_access:  read_only
        .address_space:  global
        .offset:         0
        .size:           8
        .value_kind:     global_buffer
      - .offset:         8
        .size:           8
        .value_kind:     by_value
      - .actual_access:  read_only
        .address_space:  global
        .offset:         16
        .size:           8
        .value_kind:     global_buffer
      - .actual_access:  read_only
        .address_space:  global
        .offset:         24
        .size:           8
        .value_kind:     global_buffer
      - .offset:         32
        .size:           8
        .value_kind:     by_value
      - .actual_access:  read_only
        .address_space:  global
        .offset:         40
        .size:           8
        .value_kind:     global_buffer
      - .actual_access:  read_only
        .address_space:  global
        .offset:         48
        .size:           8
        .value_kind:     global_buffer
      - .offset:         56
        .size:           4
        .value_kind:     by_value
      - .actual_access:  read_only
        .address_space:  global
        .offset:         64
        .size:           8
        .value_kind:     global_buffer
      - .actual_access:  read_only
        .address_space:  global
        .offset:         72
        .size:           8
        .value_kind:     global_buffer
      - .address_space:  global
        .offset:         80
        .size:           8
        .value_kind:     global_buffer
    .group_segment_fixed_size: 0
    .kernarg_segment_align: 8
    .kernarg_segment_size: 88
    .language:       OpenCL C
    .language_version:
      - 2
      - 0
    .max_flat_workgroup_size: 182
    .name:           fft_rtc_fwd_len910_factors_13_2_7_5_wgs_182_tpt_91_dp_ip_CI_sbrr_dirReg
    .private_segment_fixed_size: 0
    .sgpr_count:     48
    .sgpr_spill_count: 0
    .symbol:         fft_rtc_fwd_len910_factors_13_2_7_5_wgs_182_tpt_91_dp_ip_CI_sbrr_dirReg.kd
    .uniform_work_group_size: 1
    .uses_dynamic_stack: false
    .vgpr_count:     256
    .vgpr_spill_count: 0
    .wavefront_size: 64
amdhsa.target:   amdgcn-amd-amdhsa--gfx906
amdhsa.version:
  - 1
  - 2
...

	.end_amdgpu_metadata
